;; amdgpu-corpus repo=ROCm/rocFFT kind=compiled arch=gfx1201 opt=O3
	.text
	.amdgcn_target "amdgcn-amd-amdhsa--gfx1201"
	.amdhsa_code_object_version 6
	.protected	fft_rtc_fwd_len1386_factors_2_7_3_11_3_wgs_231_tpt_231_halfLds_dp_ip_CI_unitstride_sbrr_R2C_dirReg ; -- Begin function fft_rtc_fwd_len1386_factors_2_7_3_11_3_wgs_231_tpt_231_halfLds_dp_ip_CI_unitstride_sbrr_R2C_dirReg
	.globl	fft_rtc_fwd_len1386_factors_2_7_3_11_3_wgs_231_tpt_231_halfLds_dp_ip_CI_unitstride_sbrr_R2C_dirReg
	.p2align	8
	.type	fft_rtc_fwd_len1386_factors_2_7_3_11_3_wgs_231_tpt_231_halfLds_dp_ip_CI_unitstride_sbrr_R2C_dirReg,@function
fft_rtc_fwd_len1386_factors_2_7_3_11_3_wgs_231_tpt_231_halfLds_dp_ip_CI_unitstride_sbrr_R2C_dirReg: ; @fft_rtc_fwd_len1386_factors_2_7_3_11_3_wgs_231_tpt_231_halfLds_dp_ip_CI_unitstride_sbrr_R2C_dirReg
; %bb.0:
	s_clause 0x2
	s_load_b128 s[4:7], s[0:1], 0x0
	s_load_b64 s[8:9], s[0:1], 0x50
	s_load_b64 s[10:11], s[0:1], 0x18
	v_mul_u32_u24_e32 v1, 0x11c, v0
	v_mov_b32_e32 v3, 0
	s_delay_alu instid0(VALU_DEP_2) | instskip(NEXT) | instid1(VALU_DEP_1)
	v_lshrrev_b32_e32 v1, 16, v1
	v_add_nc_u32_e32 v5, ttmp9, v1
	v_mov_b32_e32 v1, 0
	v_mov_b32_e32 v2, 0
	;; [unrolled: 1-line block ×3, first 2 shown]
	s_wait_kmcnt 0x0
	v_cmp_lt_u64_e64 s2, s[6:7], 2
	s_delay_alu instid0(VALU_DEP_1)
	s_and_b32 vcc_lo, exec_lo, s2
	s_cbranch_vccnz .LBB0_8
; %bb.1:
	s_load_b64 s[2:3], s[0:1], 0x10
	v_mov_b32_e32 v1, 0
	v_mov_b32_e32 v2, 0
	s_add_nc_u64 s[12:13], s[10:11], 8
	s_mov_b64 s[14:15], 1
	s_wait_kmcnt 0x0
	s_add_nc_u64 s[16:17], s[2:3], 8
	s_mov_b32 s3, 0
.LBB0_2:                                ; =>This Inner Loop Header: Depth=1
	s_load_b64 s[18:19], s[16:17], 0x0
                                        ; implicit-def: $vgpr7_vgpr8
	s_mov_b32 s2, exec_lo
	s_wait_kmcnt 0x0
	v_or_b32_e32 v4, s19, v6
	s_delay_alu instid0(VALU_DEP_1)
	v_cmpx_ne_u64_e32 0, v[3:4]
	s_wait_alu 0xfffe
	s_xor_b32 s20, exec_lo, s2
	s_cbranch_execz .LBB0_4
; %bb.3:                                ;   in Loop: Header=BB0_2 Depth=1
	s_cvt_f32_u32 s2, s18
	s_cvt_f32_u32 s21, s19
	s_sub_nc_u64 s[24:25], 0, s[18:19]
	s_wait_alu 0xfffe
	s_delay_alu instid0(SALU_CYCLE_1) | instskip(SKIP_1) | instid1(SALU_CYCLE_2)
	s_fmamk_f32 s2, s21, 0x4f800000, s2
	s_wait_alu 0xfffe
	v_s_rcp_f32 s2, s2
	s_delay_alu instid0(TRANS32_DEP_1) | instskip(SKIP_1) | instid1(SALU_CYCLE_2)
	s_mul_f32 s2, s2, 0x5f7ffffc
	s_wait_alu 0xfffe
	s_mul_f32 s21, s2, 0x2f800000
	s_wait_alu 0xfffe
	s_delay_alu instid0(SALU_CYCLE_2) | instskip(SKIP_1) | instid1(SALU_CYCLE_2)
	s_trunc_f32 s21, s21
	s_wait_alu 0xfffe
	s_fmamk_f32 s2, s21, 0xcf800000, s2
	s_cvt_u32_f32 s23, s21
	s_wait_alu 0xfffe
	s_delay_alu instid0(SALU_CYCLE_1) | instskip(SKIP_1) | instid1(SALU_CYCLE_2)
	s_cvt_u32_f32 s22, s2
	s_wait_alu 0xfffe
	s_mul_u64 s[26:27], s[24:25], s[22:23]
	s_wait_alu 0xfffe
	s_mul_hi_u32 s29, s22, s27
	s_mul_i32 s28, s22, s27
	s_mul_hi_u32 s2, s22, s26
	s_mul_i32 s30, s23, s26
	s_wait_alu 0xfffe
	s_add_nc_u64 s[28:29], s[2:3], s[28:29]
	s_mul_hi_u32 s21, s23, s26
	s_mul_hi_u32 s31, s23, s27
	s_add_co_u32 s2, s28, s30
	s_wait_alu 0xfffe
	s_add_co_ci_u32 s2, s29, s21
	s_mul_i32 s26, s23, s27
	s_add_co_ci_u32 s27, s31, 0
	s_wait_alu 0xfffe
	s_add_nc_u64 s[26:27], s[2:3], s[26:27]
	s_wait_alu 0xfffe
	v_add_co_u32 v4, s2, s22, s26
	s_delay_alu instid0(VALU_DEP_1) | instskip(SKIP_1) | instid1(VALU_DEP_1)
	s_cmp_lg_u32 s2, 0
	s_add_co_ci_u32 s23, s23, s27
	v_readfirstlane_b32 s22, v4
	s_wait_alu 0xfffe
	s_delay_alu instid0(VALU_DEP_1)
	s_mul_u64 s[24:25], s[24:25], s[22:23]
	s_wait_alu 0xfffe
	s_mul_hi_u32 s27, s22, s25
	s_mul_i32 s26, s22, s25
	s_mul_hi_u32 s2, s22, s24
	s_mul_i32 s28, s23, s24
	s_wait_alu 0xfffe
	s_add_nc_u64 s[26:27], s[2:3], s[26:27]
	s_mul_hi_u32 s21, s23, s24
	s_mul_hi_u32 s22, s23, s25
	s_wait_alu 0xfffe
	s_add_co_u32 s2, s26, s28
	s_add_co_ci_u32 s2, s27, s21
	s_mul_i32 s24, s23, s25
	s_add_co_ci_u32 s25, s22, 0
	s_wait_alu 0xfffe
	s_add_nc_u64 s[24:25], s[2:3], s[24:25]
	s_wait_alu 0xfffe
	v_add_co_u32 v4, s2, v4, s24
	s_delay_alu instid0(VALU_DEP_1) | instskip(SKIP_1) | instid1(VALU_DEP_1)
	s_cmp_lg_u32 s2, 0
	s_add_co_ci_u32 s2, s23, s25
	v_mul_hi_u32 v13, v5, v4
	s_wait_alu 0xfffe
	v_mad_co_u64_u32 v[7:8], null, v5, s2, 0
	v_mad_co_u64_u32 v[9:10], null, v6, v4, 0
	;; [unrolled: 1-line block ×3, first 2 shown]
	s_delay_alu instid0(VALU_DEP_3) | instskip(SKIP_1) | instid1(VALU_DEP_4)
	v_add_co_u32 v4, vcc_lo, v13, v7
	s_wait_alu 0xfffd
	v_add_co_ci_u32_e32 v7, vcc_lo, 0, v8, vcc_lo
	s_delay_alu instid0(VALU_DEP_2) | instskip(SKIP_1) | instid1(VALU_DEP_2)
	v_add_co_u32 v4, vcc_lo, v4, v9
	s_wait_alu 0xfffd
	v_add_co_ci_u32_e32 v4, vcc_lo, v7, v10, vcc_lo
	s_wait_alu 0xfffd
	v_add_co_ci_u32_e32 v7, vcc_lo, 0, v12, vcc_lo
	s_delay_alu instid0(VALU_DEP_2) | instskip(SKIP_1) | instid1(VALU_DEP_2)
	v_add_co_u32 v4, vcc_lo, v4, v11
	s_wait_alu 0xfffd
	v_add_co_ci_u32_e32 v9, vcc_lo, 0, v7, vcc_lo
	s_delay_alu instid0(VALU_DEP_2) | instskip(SKIP_1) | instid1(VALU_DEP_3)
	v_mul_lo_u32 v10, s19, v4
	v_mad_co_u64_u32 v[7:8], null, s18, v4, 0
	v_mul_lo_u32 v11, s18, v9
	s_delay_alu instid0(VALU_DEP_2) | instskip(NEXT) | instid1(VALU_DEP_2)
	v_sub_co_u32 v7, vcc_lo, v5, v7
	v_add3_u32 v8, v8, v11, v10
	s_delay_alu instid0(VALU_DEP_1) | instskip(SKIP_1) | instid1(VALU_DEP_1)
	v_sub_nc_u32_e32 v10, v6, v8
	s_wait_alu 0xfffd
	v_subrev_co_ci_u32_e64 v10, s2, s19, v10, vcc_lo
	v_add_co_u32 v11, s2, v4, 2
	s_wait_alu 0xf1ff
	v_add_co_ci_u32_e64 v12, s2, 0, v9, s2
	v_sub_co_u32 v13, s2, v7, s18
	v_sub_co_ci_u32_e32 v8, vcc_lo, v6, v8, vcc_lo
	s_wait_alu 0xf1ff
	v_subrev_co_ci_u32_e64 v10, s2, 0, v10, s2
	s_delay_alu instid0(VALU_DEP_3) | instskip(NEXT) | instid1(VALU_DEP_3)
	v_cmp_le_u32_e32 vcc_lo, s18, v13
	v_cmp_eq_u32_e64 s2, s19, v8
	s_wait_alu 0xfffd
	v_cndmask_b32_e64 v13, 0, -1, vcc_lo
	v_cmp_le_u32_e32 vcc_lo, s19, v10
	s_wait_alu 0xfffd
	v_cndmask_b32_e64 v14, 0, -1, vcc_lo
	v_cmp_le_u32_e32 vcc_lo, s18, v7
	;; [unrolled: 3-line block ×3, first 2 shown]
	s_wait_alu 0xfffd
	v_cndmask_b32_e64 v15, 0, -1, vcc_lo
	v_cmp_eq_u32_e32 vcc_lo, s19, v10
	s_wait_alu 0xf1ff
	s_delay_alu instid0(VALU_DEP_2)
	v_cndmask_b32_e64 v7, v15, v7, s2
	s_wait_alu 0xfffd
	v_cndmask_b32_e32 v10, v14, v13, vcc_lo
	v_add_co_u32 v13, vcc_lo, v4, 1
	s_wait_alu 0xfffd
	v_add_co_ci_u32_e32 v14, vcc_lo, 0, v9, vcc_lo
	s_delay_alu instid0(VALU_DEP_3) | instskip(SKIP_2) | instid1(VALU_DEP_3)
	v_cmp_ne_u32_e32 vcc_lo, 0, v10
	s_wait_alu 0xfffd
	v_cndmask_b32_e32 v10, v13, v11, vcc_lo
	v_cndmask_b32_e32 v8, v14, v12, vcc_lo
	v_cmp_ne_u32_e32 vcc_lo, 0, v7
	s_wait_alu 0xfffd
	s_delay_alu instid0(VALU_DEP_2)
	v_dual_cndmask_b32 v7, v4, v10 :: v_dual_cndmask_b32 v8, v9, v8
.LBB0_4:                                ;   in Loop: Header=BB0_2 Depth=1
	s_wait_alu 0xfffe
	s_and_not1_saveexec_b32 s2, s20
	s_cbranch_execz .LBB0_6
; %bb.5:                                ;   in Loop: Header=BB0_2 Depth=1
	v_cvt_f32_u32_e32 v4, s18
	s_sub_co_i32 s20, 0, s18
	s_delay_alu instid0(VALU_DEP_1) | instskip(NEXT) | instid1(TRANS32_DEP_1)
	v_rcp_iflag_f32_e32 v4, v4
	v_mul_f32_e32 v4, 0x4f7ffffe, v4
	s_delay_alu instid0(VALU_DEP_1) | instskip(SKIP_1) | instid1(VALU_DEP_1)
	v_cvt_u32_f32_e32 v4, v4
	s_wait_alu 0xfffe
	v_mul_lo_u32 v7, s20, v4
	s_delay_alu instid0(VALU_DEP_1) | instskip(NEXT) | instid1(VALU_DEP_1)
	v_mul_hi_u32 v7, v4, v7
	v_add_nc_u32_e32 v4, v4, v7
	s_delay_alu instid0(VALU_DEP_1) | instskip(NEXT) | instid1(VALU_DEP_1)
	v_mul_hi_u32 v4, v5, v4
	v_mul_lo_u32 v7, v4, s18
	v_add_nc_u32_e32 v8, 1, v4
	s_delay_alu instid0(VALU_DEP_2) | instskip(NEXT) | instid1(VALU_DEP_1)
	v_sub_nc_u32_e32 v7, v5, v7
	v_subrev_nc_u32_e32 v9, s18, v7
	v_cmp_le_u32_e32 vcc_lo, s18, v7
	s_wait_alu 0xfffd
	s_delay_alu instid0(VALU_DEP_2) | instskip(NEXT) | instid1(VALU_DEP_1)
	v_dual_cndmask_b32 v7, v7, v9 :: v_dual_cndmask_b32 v4, v4, v8
	v_cmp_le_u32_e32 vcc_lo, s18, v7
	s_delay_alu instid0(VALU_DEP_2) | instskip(SKIP_1) | instid1(VALU_DEP_1)
	v_add_nc_u32_e32 v8, 1, v4
	s_wait_alu 0xfffd
	v_dual_cndmask_b32 v7, v4, v8 :: v_dual_mov_b32 v8, v3
.LBB0_6:                                ;   in Loop: Header=BB0_2 Depth=1
	s_wait_alu 0xfffe
	s_or_b32 exec_lo, exec_lo, s2
	s_load_b64 s[20:21], s[12:13], 0x0
	s_delay_alu instid0(VALU_DEP_1)
	v_mul_lo_u32 v4, v8, s18
	v_mul_lo_u32 v11, v7, s19
	v_mad_co_u64_u32 v[9:10], null, v7, s18, 0
	s_add_nc_u64 s[14:15], s[14:15], 1
	s_add_nc_u64 s[12:13], s[12:13], 8
	s_wait_alu 0xfffe
	v_cmp_ge_u64_e64 s2, s[14:15], s[6:7]
	s_add_nc_u64 s[16:17], s[16:17], 8
	s_delay_alu instid0(VALU_DEP_2) | instskip(NEXT) | instid1(VALU_DEP_3)
	v_add3_u32 v4, v10, v11, v4
	v_sub_co_u32 v5, vcc_lo, v5, v9
	s_wait_alu 0xfffd
	s_delay_alu instid0(VALU_DEP_2) | instskip(SKIP_3) | instid1(VALU_DEP_2)
	v_sub_co_ci_u32_e32 v4, vcc_lo, v6, v4, vcc_lo
	s_and_b32 vcc_lo, exec_lo, s2
	s_wait_kmcnt 0x0
	v_mul_lo_u32 v6, s21, v5
	v_mul_lo_u32 v4, s20, v4
	v_mad_co_u64_u32 v[1:2], null, s20, v5, v[1:2]
	s_delay_alu instid0(VALU_DEP_1)
	v_add3_u32 v2, v6, v2, v4
	s_wait_alu 0xfffe
	s_cbranch_vccnz .LBB0_9
; %bb.7:                                ;   in Loop: Header=BB0_2 Depth=1
	v_dual_mov_b32 v5, v7 :: v_dual_mov_b32 v6, v8
	s_branch .LBB0_2
.LBB0_8:
	v_dual_mov_b32 v8, v6 :: v_dual_mov_b32 v7, v5
.LBB0_9:
	s_lshl_b64 s[2:3], s[6:7], 3
	v_mul_hi_u32 v3, 0x11bb4a5, v0
	s_wait_alu 0xfffe
	s_add_nc_u64 s[2:3], s[10:11], s[2:3]
	s_load_b64 s[2:3], s[2:3], 0x0
	s_load_b64 s[0:1], s[0:1], 0x20
	s_delay_alu instid0(VALU_DEP_1) | instskip(NEXT) | instid1(VALU_DEP_1)
	v_mul_u32_u24_e32 v3, 0xe7, v3
	v_sub_nc_u32_e32 v80, v0, v3
	s_delay_alu instid0(VALU_DEP_1)
	v_add_nc_u32_e32 v82, 0xe7, v80
	v_add_nc_u32_e32 v86, 0x1ce, v80
	s_wait_kmcnt 0x0
	v_mul_lo_u32 v4, s2, v8
	v_mul_lo_u32 v5, s3, v7
	v_mad_co_u64_u32 v[1:2], null, s2, v7, v[1:2]
	v_cmp_gt_u64_e32 vcc_lo, s[0:1], v[7:8]
	v_cmp_le_u64_e64 s0, s[0:1], v[7:8]
	s_delay_alu instid0(VALU_DEP_3) | instskip(NEXT) | instid1(VALU_DEP_2)
	v_add3_u32 v2, v5, v2, v4
	s_and_saveexec_b32 s1, s0
	s_wait_alu 0xfffe
	s_xor_b32 s0, exec_lo, s1
; %bb.10:
	v_add_nc_u32_e32 v82, 0xe7, v80
	v_add_nc_u32_e32 v86, 0x1ce, v80
; %bb.11:
	s_wait_alu 0xfffe
	s_or_saveexec_b32 s1, s0
	v_lshlrev_b64_e32 v[84:85], 4, v[1:2]
	s_wait_alu 0xfffe
	s_xor_b32 exec_lo, exec_lo, s1
	s_cbranch_execz .LBB0_13
; %bb.12:
	v_mov_b32_e32 v81, 0
	s_delay_alu instid0(VALU_DEP_2) | instskip(SKIP_2) | instid1(VALU_DEP_3)
	v_add_co_u32 v2, s0, s8, v84
	s_wait_alu 0xf1ff
	v_add_co_ci_u32_e64 v3, s0, s9, v85, s0
	v_lshlrev_b64_e32 v[0:1], 4, v[80:81]
	v_lshl_add_u32 v24, v80, 4, 0
	s_delay_alu instid0(VALU_DEP_2) | instskip(SKIP_1) | instid1(VALU_DEP_3)
	v_add_co_u32 v20, s0, v2, v0
	s_wait_alu 0xf1ff
	v_add_co_ci_u32_e64 v21, s0, v3, v1, s0
	s_clause 0x5
	global_load_b128 v[0:3], v[20:21], off
	global_load_b128 v[4:7], v[20:21], off offset:3696
	global_load_b128 v[8:11], v[20:21], off offset:7392
	;; [unrolled: 1-line block ×5, first 2 shown]
	s_wait_loadcnt 0x5
	ds_store_b128 v24, v[0:3]
	s_wait_loadcnt 0x4
	ds_store_b128 v24, v[4:7] offset:3696
	s_wait_loadcnt 0x3
	ds_store_b128 v24, v[8:11] offset:7392
	;; [unrolled: 2-line block ×5, first 2 shown]
.LBB0_13:
	s_or_b32 exec_lo, exec_lo, s1
	v_lshlrev_b32_e32 v81, 4, v80
	global_wb scope:SCOPE_SE
	s_wait_dscnt 0x0
	s_barrier_signal -1
	s_barrier_wait -1
	global_inv scope:SCOPE_SE
	v_add_nc_u32_e32 v89, 0, v81
	v_lshl_add_u32 v83, v86, 5, 0
	v_cmp_gt_u32_e64 s0, 0xc6, v80
	ds_load_b128 v[0:3], v89 offset:11088
	ds_load_b128 v[12:15], v89
	ds_load_b128 v[16:19], v89 offset:3696
	ds_load_b128 v[8:11], v89 offset:14784
	ds_load_b128 v[24:27], v89 offset:7392
	ds_load_b128 v[20:23], v89 offset:18480
	global_wb scope:SCOPE_SE
	s_wait_dscnt 0x0
	s_barrier_signal -1
	s_barrier_wait -1
	global_inv scope:SCOPE_SE
	v_add_f64_e64 v[4:5], v[12:13], -v[0:1]
	v_add_f64_e64 v[6:7], v[14:15], -v[2:3]
	;; [unrolled: 1-line block ×6, first 2 shown]
	v_fma_f64 v[0:1], v[12:13], 2.0, -v[4:5]
	v_fma_f64 v[2:3], v[14:15], 2.0, -v[6:7]
	;; [unrolled: 1-line block ×6, first 2 shown]
	v_lshl_add_u32 v24, v82, 5, 0
	v_add_nc_u32_e32 v25, v89, v81
                                        ; implicit-def: $vgpr26_vgpr27
	ds_store_b128 v25, v[0:3]
	ds_store_b128 v25, v[4:7] offset:16
	ds_store_b128 v24, v[12:15]
	ds_store_b128 v24, v[8:11] offset:16
	;; [unrolled: 2-line block ×3, first 2 shown]
	global_wb scope:SCOPE_SE
	s_wait_dscnt 0x0
	s_barrier_signal -1
	s_barrier_wait -1
	global_inv scope:SCOPE_SE
	s_and_saveexec_b32 s1, s0
	s_cbranch_execz .LBB0_15
; %bb.14:
	ds_load_b128 v[0:3], v89
	ds_load_b128 v[4:7], v89 offset:3168
	ds_load_b128 v[12:15], v89 offset:6336
	;; [unrolled: 1-line block ×6, first 2 shown]
.LBB0_15:
	s_wait_alu 0xfffe
	s_or_b32 exec_lo, exec_lo, s1
	v_and_b32_e32 v56, 1, v80
	s_mov_b32 s2, 0x37e14327
	s_mov_b32 s6, 0xb247c609
	;; [unrolled: 1-line block ×4, first 2 shown]
	v_mul_u32_u24_e32 v28, 6, v56
	s_mov_b32 s10, 0xaaaaaaaa
	s_mov_b32 s11, 0xbff2aaaa
	s_delay_alu instid0(VALU_DEP_1)
	v_lshlrev_b32_e32 v48, 4, v28
	s_clause 0x5
	global_load_b128 v[28:31], v48, s[4:5]
	global_load_b128 v[32:35], v48, s[4:5] offset:16
	global_load_b128 v[36:39], v48, s[4:5] offset:80
	;; [unrolled: 1-line block ×5, first 2 shown]
	global_wb scope:SCOPE_SE
	s_wait_loadcnt_dscnt 0x0
	s_barrier_signal -1
	s_barrier_wait -1
	global_inv scope:SCOPE_SE
	v_mul_f64_e32 v[52:53], v[6:7], v[30:31]
	v_mul_f64_e32 v[30:31], v[4:5], v[30:31]
	;; [unrolled: 1-line block ×12, first 2 shown]
	v_fma_f64 v[4:5], v[4:5], v[28:29], -v[52:53]
	v_fma_f64 v[6:7], v[6:7], v[28:29], v[30:31]
	v_fma_f64 v[28:29], v[12:13], v[32:33], -v[54:55]
	v_fma_f64 v[30:31], v[14:15], v[32:33], v[34:35]
	;; [unrolled: 2-line block ×6, first 2 shown]
	v_add_f64_e32 v[8:9], v[4:5], v[24:25]
	v_add_f64_e32 v[14:15], v[6:7], v[26:27]
	;; [unrolled: 1-line block ×4, first 2 shown]
	v_add_f64_e64 v[20:21], v[4:5], -v[24:25]
	v_add_f64_e64 v[10:11], v[6:7], -v[26:27]
	v_add_f64_e32 v[4:5], v[34:35], v[16:17]
	v_add_f64_e32 v[6:7], v[36:37], v[38:39]
	v_add_f64_e64 v[24:25], v[16:17], -v[34:35]
	v_add_f64_e64 v[26:27], v[38:39], -v[36:37]
	;; [unrolled: 1-line block ×4, first 2 shown]
	v_add_f64_e32 v[34:35], v[12:13], v[8:9]
	v_add_f64_e32 v[36:37], v[18:19], v[14:15]
	v_add_f64_e64 v[22:23], v[8:9], -v[4:5]
	v_add_f64_e64 v[30:31], v[14:15], -v[6:7]
	;; [unrolled: 1-line block ×7, first 2 shown]
	v_add_f64_e32 v[57:58], v[4:5], v[34:35]
	v_add_f64_e32 v[59:60], v[6:7], v[36:37]
	v_add_f64_e64 v[36:37], v[4:5], -v[12:13]
	v_add_f64_e32 v[4:5], v[24:25], v[28:29]
	v_add_f64_e32 v[6:7], v[26:27], v[16:17]
	s_wait_alu 0xfffe
	v_mul_f64_e32 v[32:33], s[2:3], v[22:23]
	v_mul_f64_e32 v[34:35], s[2:3], v[30:31]
	v_mul_f64_e32 v[50:51], s[6:7], v[38:39]
	v_mul_f64_e32 v[48:49], s[6:7], v[46:47]
	s_mov_b32 s2, 0x36b3c0b5
	s_mov_b32 s6, 0xe976ee23
	;; [unrolled: 1-line block ×4, first 2 shown]
	v_add_f64_e32 v[0:1], v[0:1], v[57:58]
	v_add_f64_e32 v[2:3], v[2:3], v[59:60]
	;; [unrolled: 1-line block ×4, first 2 shown]
	s_wait_alu 0xfffe
	v_fma_f64 v[4:5], v[36:37], s[2:3], v[32:33]
	v_fma_f64 v[6:7], v[40:41], s[2:3], v[34:35]
	;; [unrolled: 1-line block ×6, first 2 shown]
	s_mov_b32 s10, 0x37c3f68c
	s_mov_b32 s11, 0x3fdc38aa
	s_wait_alu 0xfffe
	s_delay_alu instid0(VALU_DEP_4) | instskip(NEXT) | instid1(VALU_DEP_4)
	v_fma_f64 v[26:27], v[52:53], s[10:11], v[22:23]
	v_fma_f64 v[22:23], v[54:55], s[10:11], v[24:25]
	s_delay_alu instid0(VALU_DEP_4) | instskip(NEXT) | instid1(VALU_DEP_4)
	v_add_f64_e32 v[24:25], v[4:5], v[38:39]
	v_add_f64_e32 v[30:31], v[6:7], v[46:47]
	s_delay_alu instid0(VALU_DEP_2) | instskip(NEXT) | instid1(VALU_DEP_2)
	v_add_f64_e64 v[4:5], v[24:25], -v[22:23]
	v_add_f64_e32 v[6:7], v[26:27], v[30:31]
	s_and_saveexec_b32 s1, s0
	s_cbranch_execz .LBB0_17
; %bb.16:
	v_add_f64_e64 v[20:21], v[28:29], -v[20:21]
	v_add_f64_e64 v[14:15], v[18:19], -v[14:15]
	;; [unrolled: 1-line block ×4, first 2 shown]
	v_mul_f64_e32 v[12:13], s[2:3], v[40:41]
	v_mul_f64_e32 v[16:17], s[6:7], v[42:43]
	;; [unrolled: 1-line block ×4, first 2 shown]
	s_mov_b32 s3, 0xbfebfeb5
	s_mov_b32 s2, 0x429ad128
	;; [unrolled: 1-line block ×4, first 2 shown]
	v_mul_f64_e32 v[36:37], s[10:11], v[52:53]
	v_mul_f64_e32 v[40:41], s[10:11], v[54:55]
	s_wait_alu 0xfffe
	v_fma_f64 v[42:43], v[20:21], s[2:3], -v[50:51]
	v_fma_f64 v[34:35], v[14:15], s[6:7], -v[34:35]
	;; [unrolled: 1-line block ×4, first 2 shown]
	s_mov_b32 s7, 0x3fe77f67
	s_mov_b32 s3, 0x3febfeb5
	s_wait_alu 0xfffe
	v_fma_f64 v[12:13], v[14:15], s[6:7], -v[12:13]
	v_fma_f64 v[14:15], v[20:21], s[2:3], -v[16:17]
	;; [unrolled: 1-line block ×4, first 2 shown]
	v_add_f64_e32 v[16:17], v[36:37], v[42:43]
	v_add_f64_e32 v[18:19], v[34:35], v[46:47]
	;; [unrolled: 1-line block ×8, first 2 shown]
	v_add_f64_e64 v[10:11], v[30:31], -v[26:27]
	v_add_f64_e32 v[8:9], v[22:23], v[24:25]
	v_add_f64_e32 v[14:15], v[16:17], v[18:19]
	v_add_f64_e64 v[18:19], v[18:19], -v[16:17]
	v_add_f64_e32 v[16:17], v[32:33], v[28:29]
	v_add_f64_e32 v[26:27], v[20:21], v[12:13]
	v_add_f64_e64 v[22:23], v[12:13], -v[20:21]
	v_add_f64_e64 v[24:25], v[36:37], -v[34:35]
	v_add_f64_e32 v[20:21], v[34:35], v[36:37]
	v_add_f64_e64 v[12:13], v[28:29], -v[32:33]
	v_lshrrev_b32_e32 v28, 1, v80
	s_delay_alu instid0(VALU_DEP_1) | instskip(NEXT) | instid1(VALU_DEP_1)
	v_mul_u32_u24_e32 v28, 14, v28
	v_or_b32_e32 v28, v28, v56
	s_delay_alu instid0(VALU_DEP_1)
	v_lshl_add_u32 v28, v28, 4, 0
	ds_store_b128 v28, v[0:3]
	ds_store_b128 v28, v[8:11] offset:32
	ds_store_b128 v28, v[16:19] offset:64
	ds_store_b128 v28, v[24:27] offset:96
	ds_store_b128 v28, v[20:23] offset:128
	ds_store_b128 v28, v[12:15] offset:160
	ds_store_b128 v28, v[4:7] offset:192
.LBB0_17:
	s_wait_alu 0xfffe
	s_or_b32 exec_lo, exec_lo, s1
	v_lshrrev_b16 v0, 1, v80
	v_lshrrev_b16 v1, 1, v82
	global_wb scope:SCOPE_SE
	s_wait_dscnt 0x0
	s_barrier_signal -1
	s_barrier_wait -1
	v_and_b32_e32 v44, 0x7f, v0
	v_and_b32_e32 v0, 0xffff, v1
	global_inv scope:SCOPE_SE
	v_lshlrev_b32_e32 v45, 4, v86
	v_lshl_add_u32 v90, v82, 4, 0
	v_mul_lo_u16 v1, 0x93, v44
	v_mul_u32_u24_e32 v0, 0x4925, v0
	s_mov_b32 s0, 0xe8584caa
	v_sub_nc_u32_e32 v20, v83, v45
	s_mov_b32 s1, 0x3febb67a
	v_lshrrev_b16 v50, 10, v1
	v_lshrrev_b32_e32 v51, 17, v0
	s_mov_b32 s3, 0xbfebb67a
	s_wait_alu 0xfffe
	s_mov_b32 s2, s0
	v_mul_lo_u16 v0, v50, 14
	v_mul_lo_u16 v1, v51, 14
	s_delay_alu instid0(VALU_DEP_2) | instskip(NEXT) | instid1(VALU_DEP_2)
	v_sub_nc_u16 v0, v80, v0
	v_sub_nc_u16 v1, v82, v1
	s_delay_alu instid0(VALU_DEP_2) | instskip(NEXT) | instid1(VALU_DEP_2)
	v_and_b32_e32 v52, 0xff, v0
	v_and_b32_e32 v53, 0xffff, v1
	s_delay_alu instid0(VALU_DEP_2) | instskip(NEXT) | instid1(VALU_DEP_2)
	v_lshlrev_b32_e32 v8, 5, v52
	v_lshlrev_b32_e32 v16, 5, v53
	s_clause 0x3
	global_load_b128 v[0:3], v8, s[4:5] offset:192
	global_load_b128 v[8:11], v8, s[4:5] offset:208
	;; [unrolled: 1-line block ×4, first 2 shown]
	ds_load_b128 v[20:23], v20
	ds_load_b128 v[24:27], v89 offset:14784
	ds_load_b128 v[28:31], v89 offset:11088
	;; [unrolled: 1-line block ×3, first 2 shown]
	ds_load_b128 v[36:39], v90
	s_wait_loadcnt_dscnt 0x304
	v_mul_f64_e32 v[40:41], v[22:23], v[2:3]
	s_wait_loadcnt_dscnt 0x203
	v_mul_f64_e32 v[42:43], v[26:27], v[10:11]
	v_mul_f64_e32 v[2:3], v[20:21], v[2:3]
	;; [unrolled: 1-line block ×3, first 2 shown]
	s_wait_loadcnt_dscnt 0x102
	v_mul_f64_e32 v[46:47], v[30:31], v[14:15]
	s_wait_loadcnt_dscnt 0x1
	v_mul_f64_e32 v[48:49], v[34:35], v[18:19]
	v_mul_f64_e32 v[14:15], v[28:29], v[14:15]
	;; [unrolled: 1-line block ×3, first 2 shown]
	v_fma_f64 v[20:21], v[20:21], v[0:1], -v[40:41]
	v_fma_f64 v[24:25], v[24:25], v[8:9], -v[42:43]
	v_fma_f64 v[22:23], v[22:23], v[0:1], v[2:3]
	ds_load_b128 v[0:3], v89
	v_fma_f64 v[8:9], v[26:27], v[8:9], v[10:11]
	v_fma_f64 v[10:11], v[28:29], v[12:13], -v[46:47]
	v_fma_f64 v[26:27], v[32:33], v[16:17], -v[48:49]
	v_fma_f64 v[12:13], v[30:31], v[12:13], v[14:15]
	v_fma_f64 v[14:15], v[34:35], v[16:17], v[18:19]
	global_wb scope:SCOPE_SE
	s_wait_dscnt 0x0
	s_barrier_signal -1
	s_barrier_wait -1
	global_inv scope:SCOPE_SE
	v_add_f64_e32 v[32:33], v[0:1], v[20:21]
	v_add_f64_e32 v[16:17], v[20:21], v[24:25]
	v_add_f64_e64 v[20:21], v[20:21], -v[24:25]
	v_add_f64_e32 v[18:19], v[22:23], v[8:9]
	v_add_f64_e64 v[34:35], v[22:23], -v[8:9]
	v_add_f64_e32 v[28:29], v[10:11], v[26:27]
	v_add_f64_e32 v[22:23], v[2:3], v[22:23]
	v_add_f64_e32 v[30:31], v[12:13], v[14:15]
	v_add_f64_e32 v[40:41], v[36:37], v[10:11]
	v_add_f64_e32 v[42:43], v[38:39], v[12:13]
	v_add_f64_e64 v[46:47], v[12:13], -v[14:15]
	v_fma_f64 v[16:17], v[16:17], -0.5, v[0:1]
	v_add_f64_e32 v[0:1], v[32:33], v[24:25]
	v_and_b32_e32 v24, 0xffff, v50
	v_fma_f64 v[18:19], v[18:19], -0.5, v[2:3]
	v_lshlrev_b32_e32 v25, 4, v52
	v_fma_f64 v[28:29], v[28:29], -0.5, v[36:37]
	v_add_f64_e64 v[36:37], v[10:11], -v[26:27]
	v_fma_f64 v[30:31], v[30:31], -0.5, v[38:39]
	v_add_f64_e32 v[2:3], v[22:23], v[8:9]
	v_add_f64_e32 v[8:9], v[40:41], v[26:27]
	;; [unrolled: 1-line block ×3, first 2 shown]
	v_mul_u32_u24_e32 v24, 0x2a0, v24
	v_mul_u32_u24_e32 v26, 0x2a0, v51
	v_lshlrev_b32_e32 v27, 4, v53
                                        ; implicit-def: $vgpr38_vgpr39
	s_delay_alu instid0(VALU_DEP_3) | instskip(NEXT) | instid1(VALU_DEP_2)
	v_add3_u32 v24, 0, v24, v25
	v_add3_u32 v25, 0, v26, v27
                                        ; implicit-def: $vgpr26_vgpr27
	v_fma_f64 v[40:41], v[34:35], s[0:1], v[16:17]
	s_wait_alu 0xfffe
	v_fma_f64 v[12:13], v[34:35], s[2:3], v[16:17]
                                        ; implicit-def: $vgpr34_vgpr35
	v_fma_f64 v[42:43], v[20:21], s[2:3], v[18:19]
	v_fma_f64 v[14:15], v[20:21], s[0:1], v[18:19]
	;; [unrolled: 1-line block ×6, first 2 shown]
	v_cmp_gt_u32_e64 s0, 0x7e, v80
                                        ; implicit-def: $vgpr30_vgpr31
	ds_store_b128 v24, v[0:3]
	ds_store_b128 v24, v[40:43] offset:224
	ds_store_b128 v24, v[12:15] offset:448
	ds_store_b128 v25, v[8:11]
	ds_store_b128 v25, v[16:19] offset:224
	ds_store_b128 v25, v[20:23] offset:448
	global_wb scope:SCOPE_SE
	s_wait_dscnt 0x0
	s_barrier_signal -1
	s_barrier_wait -1
	global_inv scope:SCOPE_SE
	s_and_saveexec_b32 s1, s0
	s_cbranch_execz .LBB0_19
; %bb.18:
	ds_load_b128 v[0:3], v89
	ds_load_b128 v[40:43], v89 offset:2016
	ds_load_b128 v[12:15], v89 offset:4032
	;; [unrolled: 1-line block ×10, first 2 shown]
.LBB0_19:
	s_wait_alu 0xfffe
	s_or_b32 exec_lo, exec_lo, s1
	v_lshlrev_b32_e32 v87, 1, v82
	v_sub_nc_u32_e32 v91, 0, v45
	global_wb scope:SCOPE_SE
	s_wait_dscnt 0x0
	s_barrier_signal -1
	s_barrier_wait -1
	global_inv scope:SCOPE_SE
	s_and_saveexec_b32 s33, s0
	s_cbranch_execz .LBB0_21
; %bb.20:
	v_mul_lo_u16 v44, v44, 49
	s_mov_b32 s0, 0x640f44db
	s_mov_b32 s2, 0xd9c712b6
	;; [unrolled: 1-line block ×4, first 2 shown]
	v_lshrrev_b16 v88, 10, v44
	s_mov_b32 s16, 0x9bcd5057
	s_mov_b32 s20, 0xfd768dbf
	;; [unrolled: 1-line block ×4, first 2 shown]
	v_mul_lo_u16 v44, v88, 42
	s_mov_b32 s3, 0x3fda9628
	s_mov_b32 s11, 0xbfed1bb4
	;; [unrolled: 1-line block ×4, first 2 shown]
	v_sub_nc_u16 v44, v80, v44
	s_mov_b32 s17, 0xbfeeb42a
	s_mov_b32 s21, 0x3fd207e7
	;; [unrolled: 1-line block ×3, first 2 shown]
	s_wait_alu 0xfffe
	s_mov_b32 s22, s20
	v_and_b32_e32 v92, 0xff, v44
	s_mov_b32 s7, 0x3fefac9e
	s_mov_b32 s19, 0x3fe82f19
	;; [unrolled: 1-line block ×4, first 2 shown]
	v_mul_u32_u24_e32 v44, 10, v92
	s_mov_b32 s24, s18
	s_mov_b32 s30, s6
	;; [unrolled: 1-line block ×4, first 2 shown]
	v_lshlrev_b32_e32 v72, 4, v44
	s_mov_b32 s15, 0x3feaeb8c
	s_mov_b32 s27, 0xbfe14ced
	;; [unrolled: 1-line block ×4, first 2 shown]
	s_clause 0x9
	global_load_b128 v[93:96], v72, s[4:5] offset:640
	global_load_b128 v[76:79], v72, s[4:5] offset:656
	;; [unrolled: 1-line block ×10, first 2 shown]
	s_mov_b32 s34, s10
	s_wait_alu 0xfffe
	s_mov_b32 s28, s26
	s_wait_loadcnt 0x9
	v_mul_f64_e32 v[97:98], v[40:41], v[95:96]
	v_mul_f64_e32 v[95:96], v[42:43], v[95:96]
	s_wait_loadcnt 0x8
	v_mul_f64_e32 v[99:100], v[12:13], v[78:79]
	v_mul_f64_e32 v[78:79], v[14:15], v[78:79]
	;; [unrolled: 3-line block ×3, first 2 shown]
	v_mul_f64_e32 v[101:102], v[20:21], v[70:71]
	s_wait_loadcnt 0x2
	v_mul_f64_e32 v[105:106], v[8:9], v[46:47]
	s_wait_loadcnt 0x1
	v_mul_f64_e32 v[107:108], v[28:29], v[50:51]
	v_mul_f64_e32 v[46:47], v[10:11], v[46:47]
	;; [unrolled: 1-line block ×3, first 2 shown]
	s_wait_loadcnt 0x0
	v_mul_f64_e32 v[109:110], v[32:33], v[74:75]
	v_mul_f64_e32 v[74:75], v[34:35], v[74:75]
	;; [unrolled: 1-line block ×3, first 2 shown]
	v_fma_f64 v[42:43], v[42:43], v[93:94], v[97:98]
	v_fma_f64 v[40:41], v[40:41], v[93:94], -v[95:96]
	v_mul_f64_e32 v[97:98], v[36:37], v[58:59]
	v_mul_f64_e32 v[93:94], v[16:17], v[62:63]
	;; [unrolled: 1-line block ×6, first 2 shown]
	v_fma_f64 v[99:100], v[14:15], v[76:77], v[99:100]
	v_fma_f64 v[76:77], v[12:13], v[76:77], -v[78:79]
	v_fma_f64 v[12:13], v[28:29], v[48:49], -v[50:51]
	v_fma_f64 v[22:23], v[22:23], v[68:69], v[101:102]
	v_fma_f64 v[20:21], v[20:21], v[68:69], -v[70:71]
	v_add_f64_e32 v[111:112], v[2:3], v[42:43]
	v_add_f64_e32 v[78:79], v[0:1], v[40:41]
	v_fma_f64 v[14:15], v[38:39], v[56:57], v[97:98]
	v_fma_f64 v[38:39], v[6:7], v[64:65], v[103:104]
	;; [unrolled: 1-line block ×6, first 2 shown]
	v_fma_f64 v[6:7], v[36:37], v[56:57], -v[58:59]
	v_fma_f64 v[36:37], v[16:17], v[60:61], -v[62:63]
	;; [unrolled: 1-line block ×5, first 2 shown]
	v_fma_f64 v[4:5], v[34:35], v[72:73], v[109:110]
	v_fma_f64 v[8:9], v[32:33], v[72:73], -v[74:75]
	v_add_f64_e32 v[28:29], v[111:112], v[99:100]
	v_add_f64_e32 v[44:45], v[78:79], v[76:77]
	;; [unrolled: 1-line block ×3, first 2 shown]
	v_add_f64_e64 v[34:35], v[42:43], -v[14:15]
	v_add_f64_e32 v[42:43], v[22:23], v[38:39]
	v_add_f64_e32 v[46:47], v[93:94], v[18:19]
	v_add_f64_e64 v[72:73], v[93:94], -v[18:19]
	v_add_f64_e32 v[48:49], v[26:27], v[10:11]
	v_add_f64_e64 v[66:67], v[26:27], -v[10:11]
	v_add_f64_e64 v[50:51], v[40:41], -v[6:7]
	v_add_f64_e32 v[40:41], v[40:41], v[6:7]
	v_add_f64_e64 v[58:59], v[24:25], -v[12:13]
	;; [unrolled: 3-line block ×3, first 2 shown]
	v_add_f64_e64 v[62:63], v[99:100], -v[4:5]
	v_add_f64_e32 v[64:65], v[76:77], v[8:9]
	v_add_f64_e32 v[74:75], v[36:37], v[16:17]
	v_add_f64_e64 v[54:55], v[20:21], -v[30:31]
	v_add_f64_e64 v[68:69], v[22:23], -v[38:39]
	v_add_f64_e32 v[70:71], v[20:21], v[30:31]
	v_add_f64_e32 v[26:27], v[28:29], v[26:27]
	;; [unrolled: 1-line block ×4, first 2 shown]
	v_mul_f64_e32 v[76:77], s[16:17], v[32:33]
	v_mul_f64_e32 v[78:79], s[22:23], v[34:35]
	;; [unrolled: 1-line block ×35, first 2 shown]
	v_add_f64_e32 v[26:27], v[26:27], v[93:94]
	v_mul_f64_e32 v[93:94], s[24:25], v[62:63]
	v_add_f64_e32 v[24:25], v[24:25], v[36:37]
	v_mul_f64_e32 v[62:63], s[10:11], v[62:63]
	v_fma_f64 v[161:162], v[50:51], s[20:21], v[76:77]
	v_fma_f64 v[36:37], v[40:41], s[16:17], v[78:79]
	;; [unrolled: 1-line block ×3, first 2 shown]
	v_fma_f64 v[78:79], v[40:41], s[16:17], -v[78:79]
	v_fma_f64 v[163:164], v[50:51], s[18:19], v[95:96]
	v_fma_f64 v[95:96], v[50:51], s[24:25], v[95:96]
	;; [unrolled: 1-line block ×6, first 2 shown]
	v_fma_f64 v[105:106], v[40:41], s[2:3], -v[105:106]
	v_fma_f64 v[165:166], v[40:41], s[12:13], v[97:98]
	v_fma_f64 v[97:98], v[40:41], s[12:13], -v[97:98]
	v_fma_f64 v[169:170], v[40:41], s[0:1], v[101:102]
	v_fma_f64 v[99:100], v[50:51], s[30:31], v[99:100]
	v_fma_f64 v[101:102], v[40:41], s[0:1], -v[101:102]
	v_fma_f64 v[175:176], v[50:51], s[28:29], v[32:33]
	v_fma_f64 v[32:33], v[50:51], s[26:27], v[32:33]
	;; [unrolled: 1-line block ×3, first 2 shown]
	v_fma_f64 v[34:35], v[40:41], s[14:15], -v[34:35]
	v_fma_f64 v[40:41], v[58:59], s[18:19], v[119:120]
	v_fma_f64 v[177:178], v[58:59], s[10:11], v[123:124]
	;; [unrolled: 1-line block ×13, first 2 shown]
	v_fma_f64 v[137:138], v[64:65], s[0:1], -v[137:138]
	v_add_f64_e32 v[22:23], v[26:27], v[22:23]
	v_fma_f64 v[26:27], v[58:59], s[24:25], v[119:120]
	v_add_f64_e32 v[20:21], v[24:25], v[20:21]
	v_fma_f64 v[119:120], v[58:59], s[28:29], v[121:122]
	v_fma_f64 v[121:122], v[58:59], s[26:27], v[121:122]
	;; [unrolled: 1-line block ×8, first 2 shown]
	v_fma_f64 v[135:136], v[64:65], s[14:15], -v[135:136]
	v_fma_f64 v[191:192], v[64:65], s[16:17], v[139:140]
	v_add_f64_e32 v[161:162], v[2:3], v[161:162]
	v_fma_f64 v[139:140], v[64:65], s[16:17], -v[139:140]
	v_add_f64_e32 v[36:37], v[0:1], v[36:37]
	v_fma_f64 v[193:194], v[64:65], s[12:13], v[93:94]
	v_fma_f64 v[93:94], v[64:65], s[12:13], -v[93:94]
	v_add_f64_e32 v[76:77], v[2:3], v[76:77]
	v_fma_f64 v[195:196], v[64:65], s[2:3], v[62:63]
	v_fma_f64 v[62:63], v[64:65], s[2:3], -v[62:63]
	v_add_f64_e32 v[64:65], v[0:1], v[78:79]
	v_add_f64_e32 v[163:164], v[2:3], v[163:164]
	v_add_f64_e32 v[95:96], v[2:3], v[95:96]
	v_add_f64_e32 v[167:168], v[2:3], v[167:168]
	v_add_f64_e32 v[103:104], v[2:3], v[103:104]
	v_add_f64_e32 v[105:106], v[0:1], v[105:106]
	v_add_f64_e32 v[97:98], v[0:1], v[97:98]
	v_add_f64_e32 v[99:100], v[2:3], v[99:100]
	v_add_f64_e32 v[101:102], v[0:1], v[101:102]
	v_add_f64_e32 v[165:166], v[0:1], v[165:166]
	v_add_f64_e32 v[169:170], v[0:1], v[169:170]
	v_add_f64_e32 v[171:172], v[2:3], v[171:172]
	v_add_f64_e32 v[173:174], v[0:1], v[173:174]
	v_add_f64_e32 v[175:176], v[2:3], v[175:176]
	v_add_f64_e32 v[2:3], v[2:3], v[32:33]
	v_add_f64_e32 v[32:33], v[0:1], v[34:35]
	v_add_f64_e32 v[0:1], v[0:1], v[50:51]
	v_add_f64_e32 v[22:23], v[22:23], v[38:39]
	v_mul_f64_e32 v[155:156], s[26:27], v[72:73]
	v_add_f64_e32 v[20:21], v[20:21], v[30:31]
	v_mul_f64_e32 v[157:158], s[6:7], v[72:73]
	v_mul_f64_e32 v[72:73], s[24:25], v[72:73]
	v_fma_f64 v[78:79], v[28:29], s[12:13], v[141:142]
	v_fma_f64 v[141:142], v[28:29], s[12:13], -v[141:142]
	v_fma_f64 v[30:31], v[28:29], s[2:3], v[145:146]
	v_fma_f64 v[34:35], v[28:29], s[2:3], -v[145:146]
	v_fma_f64 v[145:146], v[28:29], s[16:17], -v[147:148]
	v_fma_f64 v[38:39], v[28:29], s[14:15], v[143:144]
	v_fma_f64 v[143:144], v[28:29], s[14:15], -v[143:144]
	v_fma_f64 v[50:51], v[28:29], s[16:17], v[147:148]
	v_add_f64_e32 v[58:59], v[58:59], v[161:162]
	v_fma_f64 v[147:148], v[28:29], s[0:1], v[66:67]
	v_add_f64_e32 v[36:37], v[60:61], v[36:37]
	v_fma_f64 v[28:29], v[28:29], s[0:1], -v[66:67]
	v_mul_f64_e32 v[107:108], s[0:1], v[42:43]
	v_add_f64_e32 v[76:77], v[127:128], v[76:77]
	v_mul_f64_e32 v[109:110], s[12:13], v[42:43]
	v_mul_f64_e32 v[111:112], s[14:15], v[42:43]
	v_add_f64_e32 v[64:65], v[135:136], v[64:65]
	v_add_f64_e32 v[163:164], v[183:184], v[163:164]
	;; [unrolled: 1-line block ×18, first 2 shown]
	v_mul_f64_e32 v[60:61], s[28:29], v[68:69]
	v_add_f64_e32 v[16:17], v[20:21], v[16:17]
	v_fma_f64 v[183:184], v[56:57], s[10:11], v[113:114]
	v_fma_f64 v[113:114], v[56:57], s[34:35], v[113:114]
	;; [unrolled: 1-line block ×11, first 2 shown]
	v_fma_f64 v[137:138], v[74:75], s[2:3], -v[151:152]
	v_fma_f64 v[139:140], v[74:75], s[16:17], v[153:154]
	v_fma_f64 v[149:150], v[74:75], s[16:17], -v[153:154]
	v_fma_f64 v[151:152], v[74:75], s[14:15], v[155:156]
	;; [unrolled: 2-line block ×4, first 2 shown]
	v_fma_f64 v[72:73], v[74:75], s[12:13], -v[72:73]
	v_add_f64_e32 v[40:41], v[40:41], v[58:59]
	v_add_f64_e32 v[36:37], v[78:79], v[36:37]
	;; [unrolled: 1-line block ×9, first 2 shown]
	v_mul_f64_e32 v[44:45], s[2:3], v[42:43]
	v_mul_f64_e32 v[42:43], s[16:17], v[42:43]
	;; [unrolled: 1-line block ×6, first 2 shown]
	v_add_f64_e32 v[76:77], v[143:144], v[97:98]
	v_add_f64_e32 v[95:96], v[123:124], v[99:100]
	;; [unrolled: 1-line block ×13, first 2 shown]
	v_fma_f64 v[127:128], v[54:55], s[6:7], v[107:108]
	v_fma_f64 v[107:108], v[54:55], s[30:31], v[107:108]
	v_fma_f64 v[32:33], v[54:55], s[18:19], v[109:110]
	v_fma_f64 v[103:104], v[54:55], s[28:29], v[111:112]
	v_fma_f64 v[119:120], v[70:71], s[14:15], v[60:61]
	v_fma_f64 v[60:61], v[70:71], s[14:15], -v[60:61]
	v_fma_f64 v[48:49], v[54:55], s[24:25], v[109:110]
	v_fma_f64 v[101:102], v[54:55], s[26:27], v[111:112]
	v_add_f64_e32 v[40:41], v[183:184], v[40:41]
	v_add_f64_e32 v[36:37], v[56:57], v[36:37]
	;; [unrolled: 1-line block ×9, first 2 shown]
	v_fma_f64 v[135:136], v[54:55], s[10:11], v[44:45]
	v_fma_f64 v[44:45], v[54:55], s[34:35], v[44:45]
	;; [unrolled: 1-line block ×5, first 2 shown]
	v_fma_f64 v[18:19], v[70:71], s[0:1], -v[159:160]
	v_fma_f64 v[42:43], v[70:71], s[2:3], v[66:67]
	v_fma_f64 v[66:67], v[70:71], s[2:3], -v[66:67]
	v_fma_f64 v[109:110], v[70:71], s[12:13], v[161:162]
	;; [unrolled: 2-line block ×3, first 2 shown]
	v_fma_f64 v[68:69], v[70:71], s[16:17], -v[68:69]
	v_add_f64_e32 v[70:71], v[149:150], v[76:77]
	v_add_f64_e32 v[76:77], v[22:23], v[95:96]
	;; [unrolled: 1-line block ×35, first 2 shown]
	v_and_b32_e32 v4, 0xffff, v88
	v_lshlrev_b32_e32 v5, 4, v92
	s_delay_alu instid0(VALU_DEP_2) | instskip(NEXT) | instid1(VALU_DEP_1)
	v_mul_u32_u24_e32 v4, 0x1ce0, v4
	v_add3_u32 v4, 0, v4, v5
	ds_store_b128 v4, v[32:35] offset:1344
	ds_store_b128 v4, v[28:31] offset:2016
	;; [unrolled: 1-line block ×9, first 2 shown]
	ds_store_b128 v4, v[12:15]
	ds_store_b128 v4, v[40:43] offset:6720
.LBB0_21:
	s_or_b32 exec_lo, exec_lo, s33
	v_dual_mov_b32 v2, 0 :: v_dual_lshlrev_b32 v1, 1, v80
	global_wb scope:SCOPE_SE
	s_wait_dscnt 0x0
	s_barrier_signal -1
	s_barrier_wait -1
	v_mov_b32_e32 v88, v2
	v_lshlrev_b64_e32 v[0:1], 4, v[1:2]
	global_inv scope:SCOPE_SE
	s_mov_b32 s3, 0xbfebb67a
	v_lshlrev_b64_e32 v[3:4], 4, v[87:88]
	v_add_co_u32 v0, s0, s4, v0
	s_wait_alu 0xf1ff
	v_add_co_ci_u32_e64 v1, s0, s5, v1, s0
	s_delay_alu instid0(VALU_DEP_3)
	v_add_co_u32 v11, s0, s4, v3
	s_wait_alu 0xf1ff
	v_add_co_ci_u32_e64 v12, s0, s5, v4, s0
	s_mov_b32 s0, 0xe8584caa
	s_clause 0x3
	global_load_b128 v[3:6], v[0:1], off offset:7360
	global_load_b128 v[7:10], v[0:1], off offset:7376
	;; [unrolled: 1-line block ×4, first 2 shown]
	v_add_nc_u32_e32 v12, v83, v91
	s_mov_b32 s1, 0x3febb67a
	s_wait_alu 0xfffe
	s_mov_b32 s2, s0
	ds_load_b128 v[21:24], v12
	ds_load_b128 v[25:28], v89 offset:14784
	ds_load_b128 v[29:32], v89 offset:11088
	;; [unrolled: 1-line block ×3, first 2 shown]
	ds_load_b128 v[37:40], v90
	s_wait_loadcnt_dscnt 0x304
	v_mul_f64_e32 v[0:1], v[23:24], v[5:6]
	s_wait_loadcnt_dscnt 0x203
	v_mul_f64_e32 v[41:42], v[27:28], v[9:10]
	v_mul_f64_e32 v[5:6], v[21:22], v[5:6]
	;; [unrolled: 1-line block ×3, first 2 shown]
	s_wait_loadcnt_dscnt 0x102
	v_mul_f64_e32 v[43:44], v[31:32], v[15:16]
	s_wait_loadcnt_dscnt 0x1
	v_mul_f64_e32 v[45:46], v[35:36], v[19:20]
	v_mul_f64_e32 v[15:16], v[29:30], v[15:16]
	;; [unrolled: 1-line block ×3, first 2 shown]
	v_fma_f64 v[0:1], v[21:22], v[3:4], -v[0:1]
	v_fma_f64 v[21:22], v[25:26], v[7:8], -v[41:42]
	v_fma_f64 v[23:24], v[23:24], v[3:4], v[5:6]
	v_fma_f64 v[7:8], v[27:28], v[7:8], v[9:10]
	v_fma_f64 v[9:10], v[29:30], v[13:14], -v[43:44]
	v_fma_f64 v[25:26], v[33:34], v[17:18], -v[45:46]
	v_fma_f64 v[13:14], v[31:32], v[13:14], v[15:16]
	v_fma_f64 v[15:16], v[35:36], v[17:18], v[19:20]
	ds_load_b128 v[3:6], v89
	global_wb scope:SCOPE_SE
	s_wait_dscnt 0x0
	s_barrier_signal -1
	s_barrier_wait -1
	global_inv scope:SCOPE_SE
	v_add_f64_e32 v[31:32], v[3:4], v[0:1]
	v_add_f64_e32 v[17:18], v[0:1], v[21:22]
	v_add_f64_e64 v[0:1], v[0:1], -v[21:22]
	v_add_f64_e32 v[19:20], v[23:24], v[7:8]
	v_add_f64_e64 v[33:34], v[23:24], -v[7:8]
	v_add_f64_e32 v[27:28], v[9:10], v[25:26]
	v_add_f64_e32 v[23:24], v[5:6], v[23:24]
	;; [unrolled: 1-line block ×5, first 2 shown]
	v_add_f64_e64 v[43:44], v[13:14], -v[15:16]
	v_fma_f64 v[17:18], v[17:18], -0.5, v[3:4]
	v_add_f64_e32 v[3:4], v[31:32], v[21:22]
	v_fma_f64 v[19:20], v[19:20], -0.5, v[5:6]
	v_fma_f64 v[27:28], v[27:28], -0.5, v[37:38]
	v_add_f64_e64 v[37:38], v[9:10], -v[25:26]
	v_fma_f64 v[29:30], v[29:30], -0.5, v[39:40]
	v_add_f64_e32 v[5:6], v[23:24], v[7:8]
	v_add_f64_e32 v[9:10], v[41:42], v[15:16]
	;; [unrolled: 1-line block ×3, first 2 shown]
	v_fma_f64 v[13:14], v[33:34], s[0:1], v[17:18]
	s_wait_alu 0xfffe
	v_fma_f64 v[17:18], v[33:34], s[2:3], v[17:18]
	v_fma_f64 v[15:16], v[0:1], s[2:3], v[19:20]
	;; [unrolled: 1-line block ×7, first 2 shown]
	s_mov_b32 s1, exec_lo
                                        ; implicit-def: $vgpr0_vgpr1
	ds_store_b128 v89, v[3:6]
	ds_store_b128 v89, v[13:16] offset:7392
	ds_store_b128 v89, v[17:20] offset:14784
	ds_store_b128 v90, v[7:10]
	ds_store_b128 v90, v[21:24] offset:7392
	ds_store_b128 v90, v[25:28] offset:14784
	global_wb scope:SCOPE_SE
	s_wait_dscnt 0x0
	s_barrier_signal -1
	s_barrier_wait -1
	global_inv scope:SCOPE_SE
	ds_load_b128 v[4:7], v89
	v_sub_nc_u32_e32 v13, 0, v81
                                        ; implicit-def: $vgpr8_vgpr9
                                        ; implicit-def: $vgpr10_vgpr11
	v_cmpx_ne_u32_e32 0, v80
	s_wait_alu 0xfffe
	s_xor_b32 s1, exec_lo, s1
	s_cbranch_execz .LBB0_23
; %bb.22:
	v_mov_b32_e32 v81, v2
	s_delay_alu instid0(VALU_DEP_1) | instskip(NEXT) | instid1(VALU_DEP_1)
	v_lshlrev_b64_e32 v[0:1], 4, v[80:81]
	v_add_co_u32 v0, s0, s4, v0
	s_wait_alu 0xf1ff
	s_delay_alu instid0(VALU_DEP_2)
	v_add_co_ci_u32_e64 v1, s0, s5, v1, s0
	global_load_b128 v[14:17], v[0:1], off offset:22144
	ds_load_b128 v[0:3], v13 offset:22176
	s_wait_dscnt 0x0
	v_add_f64_e64 v[8:9], v[4:5], -v[0:1]
	v_add_f64_e32 v[10:11], v[6:7], v[2:3]
	v_add_f64_e64 v[2:3], v[6:7], -v[2:3]
	v_add_f64_e32 v[0:1], v[4:5], v[0:1]
	s_delay_alu instid0(VALU_DEP_4) | instskip(NEXT) | instid1(VALU_DEP_4)
	v_mul_f64_e32 v[6:7], 0.5, v[8:9]
	v_mul_f64_e32 v[4:5], 0.5, v[10:11]
	s_delay_alu instid0(VALU_DEP_4) | instskip(SKIP_1) | instid1(VALU_DEP_3)
	v_mul_f64_e32 v[2:3], 0.5, v[2:3]
	s_wait_loadcnt 0x0
	v_mul_f64_e32 v[8:9], v[6:7], v[16:17]
	s_delay_alu instid0(VALU_DEP_2) | instskip(SKIP_1) | instid1(VALU_DEP_3)
	v_fma_f64 v[10:11], v[4:5], v[16:17], v[2:3]
	v_fma_f64 v[2:3], v[4:5], v[16:17], -v[2:3]
	v_fma_f64 v[18:19], v[0:1], 0.5, v[8:9]
	v_fma_f64 v[0:1], v[0:1], 0.5, -v[8:9]
	s_delay_alu instid0(VALU_DEP_4) | instskip(NEXT) | instid1(VALU_DEP_4)
	v_fma_f64 v[10:11], -v[14:15], v[6:7], v[10:11]
	v_fma_f64 v[2:3], -v[14:15], v[6:7], v[2:3]
	s_delay_alu instid0(VALU_DEP_4) | instskip(NEXT) | instid1(VALU_DEP_4)
	v_fma_f64 v[8:9], v[4:5], v[14:15], v[18:19]
	v_fma_f64 v[0:1], -v[4:5], v[14:15], v[0:1]
                                        ; implicit-def: $vgpr4_vgpr5
.LBB0_23:
	s_wait_alu 0xfffe
	s_and_not1_saveexec_b32 s0, s1
	s_cbranch_execz .LBB0_25
; %bb.24:
	s_wait_dscnt 0x0
	v_add_f64_e32 v[8:9], v[4:5], v[6:7]
	v_add_f64_e64 v[0:1], v[4:5], -v[6:7]
	v_mov_b32_e32 v6, 0
	v_mov_b32_e32 v10, 0
	;; [unrolled: 1-line block ×3, first 2 shown]
	s_delay_alu instid0(VALU_DEP_2)
	v_mov_b32_e32 v2, v10
	ds_load_b64 v[4:5], v6 offset:11096
	v_mov_b32_e32 v3, v11
	s_wait_dscnt 0x0
	v_xor_b32_e32 v5, 0x80000000, v5
	ds_store_b64 v6, v[4:5] offset:11096
.LBB0_25:
	s_wait_alu 0xfffe
	s_or_b32 exec_lo, exec_lo, s0
	v_mov_b32_e32 v83, 0
	s_wait_dscnt 0x0
	s_delay_alu instid0(VALU_DEP_1) | instskip(SKIP_1) | instid1(VALU_DEP_1)
	v_lshlrev_b64_e32 v[4:5], 4, v[82:83]
	v_mov_b32_e32 v87, v83
	v_lshlrev_b64_e32 v[14:15], 4, v[86:87]
	s_delay_alu instid0(VALU_DEP_3) | instskip(SKIP_1) | instid1(VALU_DEP_4)
	v_add_co_u32 v4, s0, s4, v4
	s_wait_alu 0xf1ff
	v_add_co_ci_u32_e64 v5, s0, s5, v5, s0
	s_delay_alu instid0(VALU_DEP_3)
	v_add_co_u32 v14, s0, s4, v14
	global_load_b128 v[4:7], v[4:5], off offset:22144
	s_wait_alu 0xf1ff
	v_add_co_ci_u32_e64 v15, s0, s5, v15, s0
	global_load_b128 v[14:17], v[14:15], off offset:22144
	ds_store_2addr_b64 v89, v[8:9], v[10:11] offset1:1
	ds_store_b128 v13, v[0:3] offset:22176
	ds_load_b128 v[0:3], v90
	ds_load_b128 v[8:11], v13 offset:18480
	s_wait_dscnt 0x0
	v_add_f64_e64 v[18:19], v[0:1], -v[8:9]
	v_add_f64_e32 v[20:21], v[2:3], v[10:11]
	v_add_f64_e64 v[2:3], v[2:3], -v[10:11]
	v_add_f64_e32 v[0:1], v[0:1], v[8:9]
	s_delay_alu instid0(VALU_DEP_4) | instskip(NEXT) | instid1(VALU_DEP_4)
	v_mul_f64_e32 v[10:11], 0.5, v[18:19]
	v_mul_f64_e32 v[18:19], 0.5, v[20:21]
	s_delay_alu instid0(VALU_DEP_4) | instskip(SKIP_1) | instid1(VALU_DEP_3)
	v_mul_f64_e32 v[2:3], 0.5, v[2:3]
	s_wait_loadcnt 0x1
	v_mul_f64_e32 v[8:9], v[10:11], v[6:7]
	s_delay_alu instid0(VALU_DEP_2) | instskip(SKIP_1) | instid1(VALU_DEP_3)
	v_fma_f64 v[20:21], v[18:19], v[6:7], v[2:3]
	v_fma_f64 v[2:3], v[18:19], v[6:7], -v[2:3]
	v_fma_f64 v[6:7], v[0:1], 0.5, v[8:9]
	v_fma_f64 v[0:1], v[0:1], 0.5, -v[8:9]
	s_delay_alu instid0(VALU_DEP_4) | instskip(NEXT) | instid1(VALU_DEP_4)
	v_fma_f64 v[8:9], -v[4:5], v[10:11], v[20:21]
	v_fma_f64 v[2:3], -v[4:5], v[10:11], v[2:3]
	s_delay_alu instid0(VALU_DEP_4) | instskip(NEXT) | instid1(VALU_DEP_4)
	v_fma_f64 v[6:7], v[18:19], v[4:5], v[6:7]
	v_fma_f64 v[0:1], -v[18:19], v[4:5], v[0:1]
	ds_store_2addr_b64 v90, v[6:7], v[8:9] offset1:1
	ds_store_b128 v13, v[0:3] offset:18480
	ds_load_b128 v[0:3], v12
	ds_load_b128 v[4:7], v13 offset:14784
	s_wait_dscnt 0x0
	v_add_f64_e64 v[8:9], v[0:1], -v[4:5]
	v_add_f64_e32 v[10:11], v[2:3], v[6:7]
	v_add_f64_e64 v[2:3], v[2:3], -v[6:7]
	v_add_f64_e32 v[0:1], v[0:1], v[4:5]
	s_delay_alu instid0(VALU_DEP_4) | instskip(NEXT) | instid1(VALU_DEP_4)
	v_mul_f64_e32 v[6:7], 0.5, v[8:9]
	v_mul_f64_e32 v[8:9], 0.5, v[10:11]
	s_delay_alu instid0(VALU_DEP_4) | instskip(SKIP_1) | instid1(VALU_DEP_3)
	v_mul_f64_e32 v[2:3], 0.5, v[2:3]
	s_wait_loadcnt 0x0
	v_mul_f64_e32 v[4:5], v[6:7], v[16:17]
	s_delay_alu instid0(VALU_DEP_2) | instskip(SKIP_1) | instid1(VALU_DEP_3)
	v_fma_f64 v[10:11], v[8:9], v[16:17], v[2:3]
	v_fma_f64 v[2:3], v[8:9], v[16:17], -v[2:3]
	v_fma_f64 v[16:17], v[0:1], 0.5, v[4:5]
	v_fma_f64 v[0:1], v[0:1], 0.5, -v[4:5]
	s_delay_alu instid0(VALU_DEP_4) | instskip(NEXT) | instid1(VALU_DEP_4)
	v_fma_f64 v[4:5], -v[14:15], v[6:7], v[10:11]
	v_fma_f64 v[2:3], -v[14:15], v[6:7], v[2:3]
	s_delay_alu instid0(VALU_DEP_4) | instskip(NEXT) | instid1(VALU_DEP_4)
	v_fma_f64 v[6:7], v[8:9], v[14:15], v[16:17]
	v_fma_f64 v[0:1], -v[8:9], v[14:15], v[0:1]
	ds_store_b64 v12, v[4:5] offset:8
	ds_store_b64 v13, v[2:3] offset:14792
	ds_store_b64 v12, v[6:7]
	ds_store_b64 v13, v[0:1] offset:14784
	global_wb scope:SCOPE_SE
	s_wait_dscnt 0x0
	s_barrier_signal -1
	s_barrier_wait -1
	global_inv scope:SCOPE_SE
	s_and_saveexec_b32 s0, vcc_lo
	s_cbranch_execz .LBB0_28
; %bb.26:
	ds_load_b128 v[2:5], v89
	ds_load_b128 v[6:9], v89 offset:3696
	ds_load_b128 v[10:13], v89 offset:7392
	;; [unrolled: 1-line block ×5, first 2 shown]
	v_mov_b32_e32 v81, v83
	v_add_co_u32 v0, vcc_lo, s8, v84
	s_wait_alu 0xfffd
	v_add_co_ci_u32_e32 v1, vcc_lo, s9, v85, vcc_lo
	s_delay_alu instid0(VALU_DEP_3) | instskip(NEXT) | instid1(VALU_DEP_1)
	v_lshlrev_b64_e32 v[26:27], 4, v[80:81]
	v_add_co_u32 v26, vcc_lo, v0, v26
	s_wait_alu 0xfffd
	s_delay_alu instid0(VALU_DEP_2)
	v_add_co_ci_u32_e32 v27, vcc_lo, v1, v27, vcc_lo
	v_cmp_eq_u32_e32 vcc_lo, 0xe6, v80
	s_wait_dscnt 0x5
	global_store_b128 v[26:27], v[2:5], off
	s_wait_dscnt 0x4
	global_store_b128 v[26:27], v[6:9], off offset:3696
	s_wait_dscnt 0x3
	global_store_b128 v[26:27], v[10:13], off offset:7392
	;; [unrolled: 2-line block ×5, first 2 shown]
	s_and_b32 exec_lo, exec_lo, vcc_lo
	s_cbranch_execz .LBB0_28
; %bb.27:
	v_mov_b32_e32 v2, 0
	ds_load_b128 v[2:5], v2 offset:22176
	s_wait_dscnt 0x0
	global_store_b128 v[0:1], v[2:5], off offset:22176
.LBB0_28:
	s_nop 0
	s_sendmsg sendmsg(MSG_DEALLOC_VGPRS)
	s_endpgm
	.section	.rodata,"a",@progbits
	.p2align	6, 0x0
	.amdhsa_kernel fft_rtc_fwd_len1386_factors_2_7_3_11_3_wgs_231_tpt_231_halfLds_dp_ip_CI_unitstride_sbrr_R2C_dirReg
		.amdhsa_group_segment_fixed_size 0
		.amdhsa_private_segment_fixed_size 0
		.amdhsa_kernarg_size 88
		.amdhsa_user_sgpr_count 2
		.amdhsa_user_sgpr_dispatch_ptr 0
		.amdhsa_user_sgpr_queue_ptr 0
		.amdhsa_user_sgpr_kernarg_segment_ptr 1
		.amdhsa_user_sgpr_dispatch_id 0
		.amdhsa_user_sgpr_private_segment_size 0
		.amdhsa_wavefront_size32 1
		.amdhsa_uses_dynamic_stack 0
		.amdhsa_enable_private_segment 0
		.amdhsa_system_sgpr_workgroup_id_x 1
		.amdhsa_system_sgpr_workgroup_id_y 0
		.amdhsa_system_sgpr_workgroup_id_z 0
		.amdhsa_system_sgpr_workgroup_info 0
		.amdhsa_system_vgpr_workitem_id 0
		.amdhsa_next_free_vgpr 197
		.amdhsa_next_free_sgpr 36
		.amdhsa_reserve_vcc 1
		.amdhsa_float_round_mode_32 0
		.amdhsa_float_round_mode_16_64 0
		.amdhsa_float_denorm_mode_32 3
		.amdhsa_float_denorm_mode_16_64 3
		.amdhsa_fp16_overflow 0
		.amdhsa_workgroup_processor_mode 1
		.amdhsa_memory_ordered 1
		.amdhsa_forward_progress 0
		.amdhsa_round_robin_scheduling 0
		.amdhsa_exception_fp_ieee_invalid_op 0
		.amdhsa_exception_fp_denorm_src 0
		.amdhsa_exception_fp_ieee_div_zero 0
		.amdhsa_exception_fp_ieee_overflow 0
		.amdhsa_exception_fp_ieee_underflow 0
		.amdhsa_exception_fp_ieee_inexact 0
		.amdhsa_exception_int_div_zero 0
	.end_amdhsa_kernel
	.text
.Lfunc_end0:
	.size	fft_rtc_fwd_len1386_factors_2_7_3_11_3_wgs_231_tpt_231_halfLds_dp_ip_CI_unitstride_sbrr_R2C_dirReg, .Lfunc_end0-fft_rtc_fwd_len1386_factors_2_7_3_11_3_wgs_231_tpt_231_halfLds_dp_ip_CI_unitstride_sbrr_R2C_dirReg
                                        ; -- End function
	.section	.AMDGPU.csdata,"",@progbits
; Kernel info:
; codeLenInByte = 8052
; NumSgprs: 38
; NumVgprs: 197
; ScratchSize: 0
; MemoryBound: 0
; FloatMode: 240
; IeeeMode: 1
; LDSByteSize: 0 bytes/workgroup (compile time only)
; SGPRBlocks: 4
; VGPRBlocks: 24
; NumSGPRsForWavesPerEU: 38
; NumVGPRsForWavesPerEU: 197
; Occupancy: 7
; WaveLimiterHint : 1
; COMPUTE_PGM_RSRC2:SCRATCH_EN: 0
; COMPUTE_PGM_RSRC2:USER_SGPR: 2
; COMPUTE_PGM_RSRC2:TRAP_HANDLER: 0
; COMPUTE_PGM_RSRC2:TGID_X_EN: 1
; COMPUTE_PGM_RSRC2:TGID_Y_EN: 0
; COMPUTE_PGM_RSRC2:TGID_Z_EN: 0
; COMPUTE_PGM_RSRC2:TIDIG_COMP_CNT: 0
	.text
	.p2alignl 7, 3214868480
	.fill 96, 4, 3214868480
	.type	__hip_cuid_7bd0d08f568a672c,@object ; @__hip_cuid_7bd0d08f568a672c
	.section	.bss,"aw",@nobits
	.globl	__hip_cuid_7bd0d08f568a672c
__hip_cuid_7bd0d08f568a672c:
	.byte	0                               ; 0x0
	.size	__hip_cuid_7bd0d08f568a672c, 1

	.ident	"AMD clang version 19.0.0git (https://github.com/RadeonOpenCompute/llvm-project roc-6.4.0 25133 c7fe45cf4b819c5991fe208aaa96edf142730f1d)"
	.section	".note.GNU-stack","",@progbits
	.addrsig
	.addrsig_sym __hip_cuid_7bd0d08f568a672c
	.amdgpu_metadata
---
amdhsa.kernels:
  - .args:
      - .actual_access:  read_only
        .address_space:  global
        .offset:         0
        .size:           8
        .value_kind:     global_buffer
      - .offset:         8
        .size:           8
        .value_kind:     by_value
      - .actual_access:  read_only
        .address_space:  global
        .offset:         16
        .size:           8
        .value_kind:     global_buffer
      - .actual_access:  read_only
        .address_space:  global
        .offset:         24
        .size:           8
        .value_kind:     global_buffer
      - .offset:         32
        .size:           8
        .value_kind:     by_value
      - .actual_access:  read_only
        .address_space:  global
        .offset:         40
        .size:           8
        .value_kind:     global_buffer
      - .actual_access:  read_only
        .address_space:  global
        .offset:         48
        .size:           8
        .value_kind:     global_buffer
      - .offset:         56
        .size:           4
        .value_kind:     by_value
      - .actual_access:  read_only
        .address_space:  global
        .offset:         64
        .size:           8
        .value_kind:     global_buffer
      - .actual_access:  read_only
        .address_space:  global
        .offset:         72
        .size:           8
        .value_kind:     global_buffer
      - .address_space:  global
        .offset:         80
        .size:           8
        .value_kind:     global_buffer
    .group_segment_fixed_size: 0
    .kernarg_segment_align: 8
    .kernarg_segment_size: 88
    .language:       OpenCL C
    .language_version:
      - 2
      - 0
    .max_flat_workgroup_size: 231
    .name:           fft_rtc_fwd_len1386_factors_2_7_3_11_3_wgs_231_tpt_231_halfLds_dp_ip_CI_unitstride_sbrr_R2C_dirReg
    .private_segment_fixed_size: 0
    .sgpr_count:     38
    .sgpr_spill_count: 0
    .symbol:         fft_rtc_fwd_len1386_factors_2_7_3_11_3_wgs_231_tpt_231_halfLds_dp_ip_CI_unitstride_sbrr_R2C_dirReg.kd
    .uniform_work_group_size: 1
    .uses_dynamic_stack: false
    .vgpr_count:     197
    .vgpr_spill_count: 0
    .wavefront_size: 32
    .workgroup_processor_mode: 1
amdhsa.target:   amdgcn-amd-amdhsa--gfx1201
amdhsa.version:
  - 1
  - 2
...

	.end_amdgpu_metadata
